;; amdgpu-corpus repo=zjin-lcf/HeCBench kind=compiled arch=gfx1201 opt=O3
	.amdgcn_target "amdgcn-amd-amdhsa--gfx1201"
	.amdhsa_code_object_version 6
	.section	.text._Z12cross_kernelIfiEviPT_PKS0_S3_T0_S4_S4_,"axG",@progbits,_Z12cross_kernelIfiEviPT_PKS0_S3_T0_S4_S4_,comdat
	.protected	_Z12cross_kernelIfiEviPT_PKS0_S3_T0_S4_S4_ ; -- Begin function _Z12cross_kernelIfiEviPT_PKS0_S3_T0_S4_S4_
	.globl	_Z12cross_kernelIfiEviPT_PKS0_S3_T0_S4_S4_
	.p2align	8
	.type	_Z12cross_kernelIfiEviPT_PKS0_S3_T0_S4_S4_,@function
_Z12cross_kernelIfiEviPT_PKS0_S3_T0_S4_S4_: ; @_Z12cross_kernelIfiEviPT_PKS0_S3_T0_S4_S4_
; %bb.0:
	s_clause 0x1
	s_load_b32 s2, s[0:1], 0x3c
	s_load_b32 s16, s[0:1], 0x0
	s_wait_kmcnt 0x0
	s_and_b32 s8, s2, 0xffff
	s_mov_b32 s2, exec_lo
	v_mad_co_u64_u32 v[0:1], null, ttmp9, s8, v[0:1]
	s_delay_alu instid0(VALU_DEP_1)
	v_cmpx_gt_i32_e64 s16, v0
	s_cbranch_execz .LBB0_3
; %bb.1:
	s_load_b96 s[12:14], s[0:1], 0x20
	s_add_nc_u64 s[2:3], s[0:1], 48
	s_load_b32 s17, s[2:3], 0x0
	s_clause 0x1
	s_load_b128 s[4:7], s[0:1], 0x8
	s_load_b64 s[2:3], s[0:1], 0x18
	v_lshl_add_u32 v1, v0, 1, v0
	s_mov_b32 s1, 0
	s_wait_kmcnt 0x0
	s_lshl_b32 s20, s14, 1
	s_ashr_i32 s15, s14, 31
	s_ashr_i32 s11, s13, 31
	s_mov_b32 s10, s13
	s_ashr_i32 s13, s12, 31
	s_ashr_i32 s21, s20, 31
	s_mul_i32 s17, s17, s8
	s_lshl_b64 s[14:15], s[14:15], 2
	s_lshl_b64 s[8:9], s[10:11], 2
	;; [unrolled: 1-line block ×3, first 2 shown]
	s_sub_nc_u64 s[12:13], 0, s[14:15]
	s_wait_alu 0xfffe
	s_mul_i32 s18, s17, 3
	s_lshl_b64 s[14:15], s[20:21], 2
.LBB0_2:                                ; =>This Inner Loop Header: Depth=1
	v_ashrrev_i32_e32 v2, 31, v1
	s_delay_alu instid0(VALU_DEP_1) | instskip(SKIP_1) | instid1(VALU_DEP_2)
	v_lshlrev_b64_e32 v[2:3], 2, v[1:2]
	v_add_nc_u32_e32 v1, s18, v1
	v_add_co_u32 v4, vcc_lo, s6, v2
	s_wait_alu 0xfffd
	s_delay_alu instid0(VALU_DEP_3)
	v_add_co_ci_u32_e64 v5, null, s7, v3, vcc_lo
	v_add_co_u32 v6, vcc_lo, s2, v2
	s_wait_alu 0xfffd
	v_add_co_ci_u32_e64 v7, null, s3, v3, vcc_lo
	v_add_co_u32 v8, vcc_lo, v4, s8
	s_wait_alu 0xfffd
	;; [unrolled: 3-line block ×3, first 2 shown]
	v_add_co_ci_u32_e64 v11, null, s15, v7, vcc_lo
	global_load_b32 v14, v[8:9], off
	v_add_co_u32 v8, vcc_lo, v8, s8
	s_wait_alu 0xfffd
	v_add_co_ci_u32_e64 v9, null, s9, v9, vcc_lo
	v_add_co_u32 v12, vcc_lo, v10, s12
	s_wait_alu 0xfffd
	v_add_co_ci_u32_e64 v13, null, s13, v11, vcc_lo
	global_load_b32 v10, v[10:11], off
	s_clause 0x1
	global_load_b32 v8, v[8:9], off
	global_load_b32 v9, v[4:5], off
	s_clause 0x1
	global_load_b32 v11, v[6:7], off
	global_load_b32 v12, v[12:13], off
	v_add_co_u32 v2, vcc_lo, s4, v2
	s_wait_alu 0xfffd
	v_add_co_ci_u32_e64 v3, null, s5, v3, vcc_lo
	v_add_nc_u32_e32 v0, s17, v0
	s_delay_alu instid0(VALU_DEP_3) | instskip(SKIP_1) | instid1(VALU_DEP_3)
	v_add_co_u32 v4, s0, v2, s10
	s_wait_alu 0xf1ff
	v_add_co_ci_u32_e64 v5, null, s11, v3, s0
	s_delay_alu instid0(VALU_DEP_2) | instskip(SKIP_1) | instid1(VALU_DEP_2)
	v_add_co_u32 v6, s0, v4, s10
	s_wait_alu 0xf1ff
	v_add_co_ci_u32_e64 v7, null, s11, v5, s0
	s_wait_loadcnt 0x2
	v_mul_f32_e32 v13, v10, v9
	s_wait_loadcnt 0x0
	v_dual_mul_f32 v15, v14, v11 :: v_dual_mul_f32 v16, v8, v12
	v_cmp_le_i32_e32 vcc_lo, s16, v0
	s_delay_alu instid0(VALU_DEP_3) | instskip(NEXT) | instid1(VALU_DEP_3)
	v_fma_f32 v8, v8, v11, -v13
	v_fma_f32 v9, v12, v9, -v15
	s_delay_alu instid0(VALU_DEP_4)
	v_fma_f32 v10, v14, v10, -v16
	s_or_b32 s1, vcc_lo, s1
	s_clause 0x2
	global_store_b32 v[2:3], v10, off
	global_store_b32 v[4:5], v8, off
	;; [unrolled: 1-line block ×3, first 2 shown]
	s_wait_alu 0xfffe
	s_and_not1_b32 exec_lo, exec_lo, s1
	s_cbranch_execnz .LBB0_2
.LBB0_3:
	s_endpgm
	.section	.rodata,"a",@progbits
	.p2align	6, 0x0
	.amdhsa_kernel _Z12cross_kernelIfiEviPT_PKS0_S3_T0_S4_S4_
		.amdhsa_group_segment_fixed_size 0
		.amdhsa_private_segment_fixed_size 0
		.amdhsa_kernarg_size 304
		.amdhsa_user_sgpr_count 2
		.amdhsa_user_sgpr_dispatch_ptr 0
		.amdhsa_user_sgpr_queue_ptr 0
		.amdhsa_user_sgpr_kernarg_segment_ptr 1
		.amdhsa_user_sgpr_dispatch_id 0
		.amdhsa_user_sgpr_private_segment_size 0
		.amdhsa_wavefront_size32 1
		.amdhsa_uses_dynamic_stack 0
		.amdhsa_enable_private_segment 0
		.amdhsa_system_sgpr_workgroup_id_x 1
		.amdhsa_system_sgpr_workgroup_id_y 0
		.amdhsa_system_sgpr_workgroup_id_z 0
		.amdhsa_system_sgpr_workgroup_info 0
		.amdhsa_system_vgpr_workitem_id 0
		.amdhsa_next_free_vgpr 17
		.amdhsa_next_free_sgpr 22
		.amdhsa_reserve_vcc 1
		.amdhsa_float_round_mode_32 0
		.amdhsa_float_round_mode_16_64 0
		.amdhsa_float_denorm_mode_32 3
		.amdhsa_float_denorm_mode_16_64 3
		.amdhsa_fp16_overflow 0
		.amdhsa_workgroup_processor_mode 1
		.amdhsa_memory_ordered 1
		.amdhsa_forward_progress 1
		.amdhsa_inst_pref_size 5
		.amdhsa_round_robin_scheduling 0
		.amdhsa_exception_fp_ieee_invalid_op 0
		.amdhsa_exception_fp_denorm_src 0
		.amdhsa_exception_fp_ieee_div_zero 0
		.amdhsa_exception_fp_ieee_overflow 0
		.amdhsa_exception_fp_ieee_underflow 0
		.amdhsa_exception_fp_ieee_inexact 0
		.amdhsa_exception_int_div_zero 0
	.end_amdhsa_kernel
	.section	.text._Z12cross_kernelIfiEviPT_PKS0_S3_T0_S4_S4_,"axG",@progbits,_Z12cross_kernelIfiEviPT_PKS0_S3_T0_S4_S4_,comdat
.Lfunc_end0:
	.size	_Z12cross_kernelIfiEviPT_PKS0_S3_T0_S4_S4_, .Lfunc_end0-_Z12cross_kernelIfiEviPT_PKS0_S3_T0_S4_S4_
                                        ; -- End function
	.set _Z12cross_kernelIfiEviPT_PKS0_S3_T0_S4_S4_.num_vgpr, 17
	.set _Z12cross_kernelIfiEviPT_PKS0_S3_T0_S4_S4_.num_agpr, 0
	.set _Z12cross_kernelIfiEviPT_PKS0_S3_T0_S4_S4_.numbered_sgpr, 22
	.set _Z12cross_kernelIfiEviPT_PKS0_S3_T0_S4_S4_.num_named_barrier, 0
	.set _Z12cross_kernelIfiEviPT_PKS0_S3_T0_S4_S4_.private_seg_size, 0
	.set _Z12cross_kernelIfiEviPT_PKS0_S3_T0_S4_S4_.uses_vcc, 1
	.set _Z12cross_kernelIfiEviPT_PKS0_S3_T0_S4_S4_.uses_flat_scratch, 0
	.set _Z12cross_kernelIfiEviPT_PKS0_S3_T0_S4_S4_.has_dyn_sized_stack, 0
	.set _Z12cross_kernelIfiEviPT_PKS0_S3_T0_S4_S4_.has_recursion, 0
	.set _Z12cross_kernelIfiEviPT_PKS0_S3_T0_S4_S4_.has_indirect_call, 0
	.section	.AMDGPU.csdata,"",@progbits
; Kernel info:
; codeLenInByte = 580
; TotalNumSgprs: 24
; NumVgprs: 17
; ScratchSize: 0
; MemoryBound: 0
; FloatMode: 240
; IeeeMode: 1
; LDSByteSize: 0 bytes/workgroup (compile time only)
; SGPRBlocks: 0
; VGPRBlocks: 2
; NumSGPRsForWavesPerEU: 24
; NumVGPRsForWavesPerEU: 17
; Occupancy: 16
; WaveLimiterHint : 0
; COMPUTE_PGM_RSRC2:SCRATCH_EN: 0
; COMPUTE_PGM_RSRC2:USER_SGPR: 2
; COMPUTE_PGM_RSRC2:TRAP_HANDLER: 0
; COMPUTE_PGM_RSRC2:TGID_X_EN: 1
; COMPUTE_PGM_RSRC2:TGID_Y_EN: 0
; COMPUTE_PGM_RSRC2:TGID_Z_EN: 0
; COMPUTE_PGM_RSRC2:TIDIG_COMP_CNT: 0
	.section	.text._Z13cross2_kernelIfiEviPT_PKS0_S3_T0_S4_S4_,"axG",@progbits,_Z13cross2_kernelIfiEviPT_PKS0_S3_T0_S4_S4_,comdat
	.protected	_Z13cross2_kernelIfiEviPT_PKS0_S3_T0_S4_S4_ ; -- Begin function _Z13cross2_kernelIfiEviPT_PKS0_S3_T0_S4_S4_
	.globl	_Z13cross2_kernelIfiEviPT_PKS0_S3_T0_S4_S4_
	.p2align	8
	.type	_Z13cross2_kernelIfiEviPT_PKS0_S3_T0_S4_S4_,@function
_Z13cross2_kernelIfiEviPT_PKS0_S3_T0_S4_S4_: ; @_Z13cross2_kernelIfiEviPT_PKS0_S3_T0_S4_S4_
; %bb.0:
	s_clause 0x1
	s_load_b32 s2, s[0:1], 0x3c
	s_load_b32 s14, s[0:1], 0x0
	s_wait_kmcnt 0x0
	s_and_b32 s8, s2, 0xffff
	s_mov_b32 s2, exec_lo
	v_mad_co_u64_u32 v[0:1], null, ttmp9, s8, v[0:1]
	s_delay_alu instid0(VALU_DEP_1)
	v_cmpx_gt_i32_e64 s14, v0
	s_cbranch_execz .LBB1_3
; %bb.1:
	s_load_b96 s[16:18], s[0:1], 0x20
	s_add_nc_u64 s[2:3], s[0:1], 48
	s_load_b32 s9, s[2:3], 0x0
	s_clause 0x1
	s_load_b128 s[4:7], s[0:1], 0x8
	s_load_b64 s[2:3], s[0:1], 0x18
	v_lshl_add_u32 v1, v0, 1, v0
	s_wait_kmcnt 0x0
	s_ashr_i32 s11, s17, 31
	s_mov_b32 s10, s17
	s_ashr_i32 s13, s18, 31
	s_mov_b32 s12, s18
	s_ashr_i32 s17, s16, 31
	s_mul_i32 s1, s9, s8
	s_lshl_b64 s[8:9], s[10:11], 2
	s_lshl_b64 s[10:11], s[12:13], 2
	;; [unrolled: 1-line block ×3, first 2 shown]
	s_wait_alu 0xfffe
	s_mul_i32 s15, s1, 3
	s_mov_b32 s16, 0
.LBB1_2:                                ; =>This Inner Loop Header: Depth=1
	v_ashrrev_i32_e32 v2, 31, v1
	v_add_nc_u32_e32 v0, s1, v0
	s_delay_alu instid0(VALU_DEP_2) | instskip(SKIP_2) | instid1(VALU_DEP_2)
	v_lshlrev_b64_e32 v[2:3], 2, v[1:2]
	s_wait_alu 0xfffe
	v_add_nc_u32_e32 v1, s15, v1
	v_add_co_u32 v4, vcc_lo, s6, v2
	s_wait_alu 0xfffd
	s_delay_alu instid0(VALU_DEP_3)
	v_add_co_ci_u32_e64 v5, null, s7, v3, vcc_lo
	v_add_co_u32 v6, vcc_lo, s2, v2
	s_wait_alu 0xfffd
	v_add_co_ci_u32_e64 v7, null, s3, v3, vcc_lo
	global_load_b32 v14, v[4:5], off
	v_add_co_u32 v4, vcc_lo, v4, s8
	s_wait_alu 0xfffd
	v_add_co_ci_u32_e64 v5, null, s9, v5, vcc_lo
	v_add_co_u32 v8, vcc_lo, v6, s10
	s_wait_alu 0xfffd
	v_add_co_ci_u32_e64 v9, null, s11, v7, vcc_lo
	;; [unrolled: 3-line block ×4, first 2 shown]
	s_clause 0x1
	global_load_b32 v15, v[4:5], off
	global_load_b32 v10, v[10:11], off
	s_clause 0x2
	global_load_b32 v11, v[6:7], off
	global_load_b32 v8, v[8:9], off
	;; [unrolled: 1-line block ×3, first 2 shown]
	v_add_co_u32 v2, vcc_lo, s4, v2
	s_wait_alu 0xfffd
	v_add_co_ci_u32_e64 v3, null, s5, v3, vcc_lo
	v_cmp_le_i32_e32 vcc_lo, s14, v0
	s_delay_alu instid0(VALU_DEP_3) | instskip(SKIP_1) | instid1(VALU_DEP_3)
	v_add_co_u32 v4, s0, v2, s12
	s_wait_alu 0xf1ff
	v_add_co_ci_u32_e64 v5, null, s13, v3, s0
	s_or_b32 s16, vcc_lo, s16
	v_add_co_u32 v6, s0, v4, s12
	s_wait_alu 0xf1ff
	v_add_co_ci_u32_e64 v7, null, s13, v5, s0
	s_wait_loadcnt 0x1
	v_dual_mul_f32 v12, v15, v11 :: v_dual_mul_f32 v13, v10, v8
	s_wait_loadcnt 0x0
	v_mul_f32_e32 v16, v14, v9
	s_delay_alu instid0(VALU_DEP_2) | instskip(NEXT) | instid1(VALU_DEP_3)
	v_fma_f32 v8, v14, v8, -v12
	v_fma_f32 v9, v15, v9, -v13
	s_delay_alu instid0(VALU_DEP_3)
	v_fma_f32 v10, v10, v11, -v16
	s_clause 0x2
	global_store_b32 v[2:3], v9, off
	global_store_b32 v[4:5], v10, off
	;; [unrolled: 1-line block ×3, first 2 shown]
	s_and_not1_b32 exec_lo, exec_lo, s16
	s_cbranch_execnz .LBB1_2
.LBB1_3:
	s_endpgm
	.section	.rodata,"a",@progbits
	.p2align	6, 0x0
	.amdhsa_kernel _Z13cross2_kernelIfiEviPT_PKS0_S3_T0_S4_S4_
		.amdhsa_group_segment_fixed_size 0
		.amdhsa_private_segment_fixed_size 0
		.amdhsa_kernarg_size 304
		.amdhsa_user_sgpr_count 2
		.amdhsa_user_sgpr_dispatch_ptr 0
		.amdhsa_user_sgpr_queue_ptr 0
		.amdhsa_user_sgpr_kernarg_segment_ptr 1
		.amdhsa_user_sgpr_dispatch_id 0
		.amdhsa_user_sgpr_private_segment_size 0
		.amdhsa_wavefront_size32 1
		.amdhsa_uses_dynamic_stack 0
		.amdhsa_enable_private_segment 0
		.amdhsa_system_sgpr_workgroup_id_x 1
		.amdhsa_system_sgpr_workgroup_id_y 0
		.amdhsa_system_sgpr_workgroup_id_z 0
		.amdhsa_system_sgpr_workgroup_info 0
		.amdhsa_system_vgpr_workitem_id 0
		.amdhsa_next_free_vgpr 17
		.amdhsa_next_free_sgpr 19
		.amdhsa_reserve_vcc 1
		.amdhsa_float_round_mode_32 0
		.amdhsa_float_round_mode_16_64 0
		.amdhsa_float_denorm_mode_32 3
		.amdhsa_float_denorm_mode_16_64 3
		.amdhsa_fp16_overflow 0
		.amdhsa_workgroup_processor_mode 1
		.amdhsa_memory_ordered 1
		.amdhsa_forward_progress 1
		.amdhsa_inst_pref_size 5
		.amdhsa_round_robin_scheduling 0
		.amdhsa_exception_fp_ieee_invalid_op 0
		.amdhsa_exception_fp_denorm_src 0
		.amdhsa_exception_fp_ieee_div_zero 0
		.amdhsa_exception_fp_ieee_overflow 0
		.amdhsa_exception_fp_ieee_underflow 0
		.amdhsa_exception_fp_ieee_inexact 0
		.amdhsa_exception_int_div_zero 0
	.end_amdhsa_kernel
	.section	.text._Z13cross2_kernelIfiEviPT_PKS0_S3_T0_S4_S4_,"axG",@progbits,_Z13cross2_kernelIfiEviPT_PKS0_S3_T0_S4_S4_,comdat
.Lfunc_end1:
	.size	_Z13cross2_kernelIfiEviPT_PKS0_S3_T0_S4_S4_, .Lfunc_end1-_Z13cross2_kernelIfiEviPT_PKS0_S3_T0_S4_S4_
                                        ; -- End function
	.set _Z13cross2_kernelIfiEviPT_PKS0_S3_T0_S4_S4_.num_vgpr, 17
	.set _Z13cross2_kernelIfiEviPT_PKS0_S3_T0_S4_S4_.num_agpr, 0
	.set _Z13cross2_kernelIfiEviPT_PKS0_S3_T0_S4_S4_.numbered_sgpr, 19
	.set _Z13cross2_kernelIfiEviPT_PKS0_S3_T0_S4_S4_.num_named_barrier, 0
	.set _Z13cross2_kernelIfiEviPT_PKS0_S3_T0_S4_S4_.private_seg_size, 0
	.set _Z13cross2_kernelIfiEviPT_PKS0_S3_T0_S4_S4_.uses_vcc, 1
	.set _Z13cross2_kernelIfiEviPT_PKS0_S3_T0_S4_S4_.uses_flat_scratch, 0
	.set _Z13cross2_kernelIfiEviPT_PKS0_S3_T0_S4_S4_.has_dyn_sized_stack, 0
	.set _Z13cross2_kernelIfiEviPT_PKS0_S3_T0_S4_S4_.has_recursion, 0
	.set _Z13cross2_kernelIfiEviPT_PKS0_S3_T0_S4_S4_.has_indirect_call, 0
	.section	.AMDGPU.csdata,"",@progbits
; Kernel info:
; codeLenInByte = 564
; TotalNumSgprs: 21
; NumVgprs: 17
; ScratchSize: 0
; MemoryBound: 0
; FloatMode: 240
; IeeeMode: 1
; LDSByteSize: 0 bytes/workgroup (compile time only)
; SGPRBlocks: 0
; VGPRBlocks: 2
; NumSGPRsForWavesPerEU: 21
; NumVGPRsForWavesPerEU: 17
; Occupancy: 16
; WaveLimiterHint : 0
; COMPUTE_PGM_RSRC2:SCRATCH_EN: 0
; COMPUTE_PGM_RSRC2:USER_SGPR: 2
; COMPUTE_PGM_RSRC2:TRAP_HANDLER: 0
; COMPUTE_PGM_RSRC2:TGID_X_EN: 1
; COMPUTE_PGM_RSRC2:TGID_Y_EN: 0
; COMPUTE_PGM_RSRC2:TGID_Z_EN: 0
; COMPUTE_PGM_RSRC2:TIDIG_COMP_CNT: 0
	.section	.text._Z13cross3_kernelIfEviPT_PKS0_S3_,"axG",@progbits,_Z13cross3_kernelIfEviPT_PKS0_S3_,comdat
	.protected	_Z13cross3_kernelIfEviPT_PKS0_S3_ ; -- Begin function _Z13cross3_kernelIfEviPT_PKS0_S3_
	.globl	_Z13cross3_kernelIfEviPT_PKS0_S3_
	.p2align	8
	.type	_Z13cross3_kernelIfEviPT_PKS0_S3_,@function
_Z13cross3_kernelIfEviPT_PKS0_S3_:      ; @_Z13cross3_kernelIfEviPT_PKS0_S3_
; %bb.0:
	s_clause 0x1
	s_load_b32 s2, s[0:1], 0x2c
	s_load_b32 s8, s[0:1], 0x0
	s_wait_kmcnt 0x0
	s_and_b32 s9, s2, 0xffff
	s_mov_b32 s2, exec_lo
	v_mad_co_u64_u32 v[0:1], null, ttmp9, s9, v[0:1]
	s_delay_alu instid0(VALU_DEP_1)
	v_cmpx_gt_i32_e64 s8, v0
	s_cbranch_execz .LBB2_3
; %bb.1:
	s_add_nc_u64 s[2:3], s[0:1], 32
	v_lshl_add_u32 v1, v0, 1, v0
	s_load_b32 s10, s[2:3], 0x0
	s_clause 0x1
	s_load_b128 s[4:7], s[0:1], 0x8
	s_load_b64 s[2:3], s[0:1], 0x18
	s_wait_kmcnt 0x0
	s_mul_i32 s1, s10, s9
	s_mov_b32 s10, 0
	s_wait_alu 0xfffe
	s_mul_i32 s9, s1, 3
.LBB2_2:                                ; =>This Inner Loop Header: Depth=1
	v_ashrrev_i32_e32 v2, 31, v1
	s_delay_alu instid0(VALU_DEP_1) | instskip(SKIP_2) | instid1(VALU_DEP_2)
	v_lshlrev_b64_e32 v[8:9], 2, v[1:2]
	s_wait_alu 0xfffe
	v_add_nc_u32_e32 v1, s9, v1
	v_add_co_u32 v2, vcc_lo, s6, v8
	s_wait_alu 0xfffd
	s_delay_alu instid0(VALU_DEP_3)
	v_add_co_ci_u32_e64 v3, null, s7, v9, vcc_lo
	v_add_co_u32 v5, vcc_lo, s2, v8
	s_wait_alu 0xfffd
	v_add_co_ci_u32_e64 v6, null, s3, v9, vcc_lo
	global_load_b96 v[2:4], v[2:3], off
	global_load_b96 v[5:7], v[5:6], off
	v_add_nc_u32_e32 v0, s1, v0
	v_add_co_u32 v8, s0, s4, v8
	s_wait_alu 0xf1ff
	v_add_co_ci_u32_e64 v9, null, s5, v9, s0
	s_wait_loadcnt 0x0
	v_dual_mul_f32 v10, v4, v6 :: v_dual_mul_f32 v11, v2, v7
	v_mul_f32_e32 v12, v3, v5
	v_cmp_le_i32_e32 vcc_lo, s8, v0
	s_delay_alu instid0(VALU_DEP_3) | instskip(NEXT) | instid1(VALU_DEP_4)
	v_fma_f32 v3, v3, v7, -v10
	v_fma_f32 v4, v4, v5, -v11
	s_delay_alu instid0(VALU_DEP_4)
	v_fma_f32 v5, v2, v6, -v12
	s_or_b32 s10, vcc_lo, s10
	global_store_b96 v[8:9], v[3:5], off
	s_and_not1_b32 exec_lo, exec_lo, s10
	s_cbranch_execnz .LBB2_2
.LBB2_3:
	s_endpgm
	.section	.rodata,"a",@progbits
	.p2align	6, 0x0
	.amdhsa_kernel _Z13cross3_kernelIfEviPT_PKS0_S3_
		.amdhsa_group_segment_fixed_size 0
		.amdhsa_private_segment_fixed_size 0
		.amdhsa_kernarg_size 288
		.amdhsa_user_sgpr_count 2
		.amdhsa_user_sgpr_dispatch_ptr 0
		.amdhsa_user_sgpr_queue_ptr 0
		.amdhsa_user_sgpr_kernarg_segment_ptr 1
		.amdhsa_user_sgpr_dispatch_id 0
		.amdhsa_user_sgpr_private_segment_size 0
		.amdhsa_wavefront_size32 1
		.amdhsa_uses_dynamic_stack 0
		.amdhsa_enable_private_segment 0
		.amdhsa_system_sgpr_workgroup_id_x 1
		.amdhsa_system_sgpr_workgroup_id_y 0
		.amdhsa_system_sgpr_workgroup_id_z 0
		.amdhsa_system_sgpr_workgroup_info 0
		.amdhsa_system_vgpr_workitem_id 0
		.amdhsa_next_free_vgpr 13
		.amdhsa_next_free_sgpr 11
		.amdhsa_reserve_vcc 1
		.amdhsa_float_round_mode_32 0
		.amdhsa_float_round_mode_16_64 0
		.amdhsa_float_denorm_mode_32 3
		.amdhsa_float_denorm_mode_16_64 3
		.amdhsa_fp16_overflow 0
		.amdhsa_workgroup_processor_mode 1
		.amdhsa_memory_ordered 1
		.amdhsa_forward_progress 1
		.amdhsa_inst_pref_size 3
		.amdhsa_round_robin_scheduling 0
		.amdhsa_exception_fp_ieee_invalid_op 0
		.amdhsa_exception_fp_denorm_src 0
		.amdhsa_exception_fp_ieee_div_zero 0
		.amdhsa_exception_fp_ieee_overflow 0
		.amdhsa_exception_fp_ieee_underflow 0
		.amdhsa_exception_fp_ieee_inexact 0
		.amdhsa_exception_int_div_zero 0
	.end_amdhsa_kernel
	.section	.text._Z13cross3_kernelIfEviPT_PKS0_S3_,"axG",@progbits,_Z13cross3_kernelIfEviPT_PKS0_S3_,comdat
.Lfunc_end2:
	.size	_Z13cross3_kernelIfEviPT_PKS0_S3_, .Lfunc_end2-_Z13cross3_kernelIfEviPT_PKS0_S3_
                                        ; -- End function
	.set _Z13cross3_kernelIfEviPT_PKS0_S3_.num_vgpr, 13
	.set _Z13cross3_kernelIfEviPT_PKS0_S3_.num_agpr, 0
	.set _Z13cross3_kernelIfEviPT_PKS0_S3_.numbered_sgpr, 11
	.set _Z13cross3_kernelIfEviPT_PKS0_S3_.num_named_barrier, 0
	.set _Z13cross3_kernelIfEviPT_PKS0_S3_.private_seg_size, 0
	.set _Z13cross3_kernelIfEviPT_PKS0_S3_.uses_vcc, 1
	.set _Z13cross3_kernelIfEviPT_PKS0_S3_.uses_flat_scratch, 0
	.set _Z13cross3_kernelIfEviPT_PKS0_S3_.has_dyn_sized_stack, 0
	.set _Z13cross3_kernelIfEviPT_PKS0_S3_.has_recursion, 0
	.set _Z13cross3_kernelIfEviPT_PKS0_S3_.has_indirect_call, 0
	.section	.AMDGPU.csdata,"",@progbits
; Kernel info:
; codeLenInByte = 312
; TotalNumSgprs: 13
; NumVgprs: 13
; ScratchSize: 0
; MemoryBound: 0
; FloatMode: 240
; IeeeMode: 1
; LDSByteSize: 0 bytes/workgroup (compile time only)
; SGPRBlocks: 0
; VGPRBlocks: 1
; NumSGPRsForWavesPerEU: 13
; NumVGPRsForWavesPerEU: 13
; Occupancy: 16
; WaveLimiterHint : 0
; COMPUTE_PGM_RSRC2:SCRATCH_EN: 0
; COMPUTE_PGM_RSRC2:USER_SGPR: 2
; COMPUTE_PGM_RSRC2:TRAP_HANDLER: 0
; COMPUTE_PGM_RSRC2:TGID_X_EN: 1
; COMPUTE_PGM_RSRC2:TGID_Y_EN: 0
; COMPUTE_PGM_RSRC2:TGID_Z_EN: 0
; COMPUTE_PGM_RSRC2:TIDIG_COMP_CNT: 0
	.section	.text._Z12cross_kernelIdiEviPT_PKS0_S3_T0_S4_S4_,"axG",@progbits,_Z12cross_kernelIdiEviPT_PKS0_S3_T0_S4_S4_,comdat
	.protected	_Z12cross_kernelIdiEviPT_PKS0_S3_T0_S4_S4_ ; -- Begin function _Z12cross_kernelIdiEviPT_PKS0_S3_T0_S4_S4_
	.globl	_Z12cross_kernelIdiEviPT_PKS0_S3_T0_S4_S4_
	.p2align	8
	.type	_Z12cross_kernelIdiEviPT_PKS0_S3_T0_S4_S4_,@function
_Z12cross_kernelIdiEviPT_PKS0_S3_T0_S4_S4_: ; @_Z12cross_kernelIdiEviPT_PKS0_S3_T0_S4_S4_
; %bb.0:
	s_clause 0x1
	s_load_b32 s2, s[0:1], 0x3c
	s_load_b32 s16, s[0:1], 0x0
	s_wait_kmcnt 0x0
	s_and_b32 s8, s2, 0xffff
	s_mov_b32 s2, exec_lo
	v_mad_co_u64_u32 v[0:1], null, ttmp9, s8, v[0:1]
	s_delay_alu instid0(VALU_DEP_1)
	v_cmpx_gt_i32_e64 s16, v0
	s_cbranch_execz .LBB3_3
; %bb.1:
	s_load_b96 s[12:14], s[0:1], 0x20
	s_add_nc_u64 s[2:3], s[0:1], 48
	s_load_b32 s17, s[2:3], 0x0
	s_clause 0x1
	s_load_b128 s[4:7], s[0:1], 0x8
	s_load_b64 s[2:3], s[0:1], 0x18
	v_lshl_add_u32 v1, v0, 1, v0
	s_mov_b32 s1, 0
	s_wait_kmcnt 0x0
	s_lshl_b32 s20, s14, 1
	s_ashr_i32 s15, s14, 31
	s_ashr_i32 s11, s13, 31
	s_mov_b32 s10, s13
	s_ashr_i32 s13, s12, 31
	s_ashr_i32 s21, s20, 31
	s_mul_i32 s17, s17, s8
	s_lshl_b64 s[14:15], s[14:15], 3
	s_lshl_b64 s[8:9], s[10:11], 3
	;; [unrolled: 1-line block ×3, first 2 shown]
	s_sub_nc_u64 s[12:13], 0, s[14:15]
	s_wait_alu 0xfffe
	s_mul_i32 s18, s17, 3
	s_lshl_b64 s[14:15], s[20:21], 3
.LBB3_2:                                ; =>This Inner Loop Header: Depth=1
	v_ashrrev_i32_e32 v2, 31, v1
	v_add_nc_u32_e32 v0, s17, v0
	s_delay_alu instid0(VALU_DEP_2) | instskip(SKIP_1) | instid1(VALU_DEP_2)
	v_lshlrev_b64_e32 v[2:3], 3, v[1:2]
	v_add_nc_u32_e32 v1, s18, v1
	v_add_co_u32 v4, vcc_lo, s6, v2
	s_wait_alu 0xfffd
	s_delay_alu instid0(VALU_DEP_3)
	v_add_co_ci_u32_e64 v5, null, s7, v3, vcc_lo
	v_add_co_u32 v6, vcc_lo, s2, v2
	s_wait_alu 0xfffd
	v_add_co_ci_u32_e64 v7, null, s3, v3, vcc_lo
	v_add_co_u32 v8, vcc_lo, v4, s8
	s_wait_alu 0xfffd
	;; [unrolled: 3-line block ×5, first 2 shown]
	v_add_co_ci_u32_e64 v15, null, s13, v11, vcc_lo
	global_load_b64 v[10:11], v[10:11], off
	global_load_b64 v[12:13], v[12:13], off
	s_clause 0x1
	global_load_b64 v[14:15], v[14:15], off
	global_load_b64 v[6:7], v[6:7], off
	s_clause 0x1
	global_load_b64 v[4:5], v[4:5], off
	global_load_b64 v[8:9], v[8:9], off
	v_add_co_u32 v2, vcc_lo, s4, v2
	s_wait_alu 0xfffd
	v_add_co_ci_u32_e64 v3, null, s5, v3, vcc_lo
	s_wait_loadcnt 0x3
	v_mul_f64_e32 v[16:17], v[12:13], v[14:15]
	s_wait_loadcnt 0x1
	v_mul_f64_e32 v[18:19], v[10:11], v[4:5]
	s_wait_loadcnt 0x0
	v_mul_f64_e32 v[20:21], v[8:9], v[6:7]
	s_delay_alu instid0(VALU_DEP_3) | instskip(SKIP_1) | instid1(VALU_DEP_4)
	v_fma_f64 v[8:9], v[8:9], v[10:11], -v[16:17]
	v_add_co_u32 v10, vcc_lo, v2, s10
	v_fma_f64 v[6:7], v[12:13], v[6:7], -v[18:19]
	s_delay_alu instid0(VALU_DEP_4)
	v_fma_f64 v[4:5], v[14:15], v[4:5], -v[20:21]
	s_wait_alu 0xfffd
	v_add_co_ci_u32_e64 v11, null, s11, v3, vcc_lo
	v_cmp_le_i32_e32 vcc_lo, s16, v0
	v_add_co_u32 v12, s0, v10, s10
	s_wait_alu 0xf1ff
	s_delay_alu instid0(VALU_DEP_3)
	v_add_co_ci_u32_e64 v13, null, s11, v11, s0
	s_or_b32 s1, vcc_lo, s1
	s_clause 0x2
	global_store_b64 v[2:3], v[8:9], off
	global_store_b64 v[10:11], v[6:7], off
	;; [unrolled: 1-line block ×3, first 2 shown]
	s_wait_alu 0xfffe
	s_and_not1_b32 exec_lo, exec_lo, s1
	s_cbranch_execnz .LBB3_2
.LBB3_3:
	s_endpgm
	.section	.rodata,"a",@progbits
	.p2align	6, 0x0
	.amdhsa_kernel _Z12cross_kernelIdiEviPT_PKS0_S3_T0_S4_S4_
		.amdhsa_group_segment_fixed_size 0
		.amdhsa_private_segment_fixed_size 0
		.amdhsa_kernarg_size 304
		.amdhsa_user_sgpr_count 2
		.amdhsa_user_sgpr_dispatch_ptr 0
		.amdhsa_user_sgpr_queue_ptr 0
		.amdhsa_user_sgpr_kernarg_segment_ptr 1
		.amdhsa_user_sgpr_dispatch_id 0
		.amdhsa_user_sgpr_private_segment_size 0
		.amdhsa_wavefront_size32 1
		.amdhsa_uses_dynamic_stack 0
		.amdhsa_enable_private_segment 0
		.amdhsa_system_sgpr_workgroup_id_x 1
		.amdhsa_system_sgpr_workgroup_id_y 0
		.amdhsa_system_sgpr_workgroup_id_z 0
		.amdhsa_system_sgpr_workgroup_info 0
		.amdhsa_system_vgpr_workitem_id 0
		.amdhsa_next_free_vgpr 22
		.amdhsa_next_free_sgpr 22
		.amdhsa_reserve_vcc 1
		.amdhsa_float_round_mode_32 0
		.amdhsa_float_round_mode_16_64 0
		.amdhsa_float_denorm_mode_32 3
		.amdhsa_float_denorm_mode_16_64 3
		.amdhsa_fp16_overflow 0
		.amdhsa_workgroup_processor_mode 1
		.amdhsa_memory_ordered 1
		.amdhsa_forward_progress 1
		.amdhsa_inst_pref_size 5
		.amdhsa_round_robin_scheduling 0
		.amdhsa_exception_fp_ieee_invalid_op 0
		.amdhsa_exception_fp_denorm_src 0
		.amdhsa_exception_fp_ieee_div_zero 0
		.amdhsa_exception_fp_ieee_overflow 0
		.amdhsa_exception_fp_ieee_underflow 0
		.amdhsa_exception_fp_ieee_inexact 0
		.amdhsa_exception_int_div_zero 0
	.end_amdhsa_kernel
	.section	.text._Z12cross_kernelIdiEviPT_PKS0_S3_T0_S4_S4_,"axG",@progbits,_Z12cross_kernelIdiEviPT_PKS0_S3_T0_S4_S4_,comdat
.Lfunc_end3:
	.size	_Z12cross_kernelIdiEviPT_PKS0_S3_T0_S4_S4_, .Lfunc_end3-_Z12cross_kernelIdiEviPT_PKS0_S3_T0_S4_S4_
                                        ; -- End function
	.set _Z12cross_kernelIdiEviPT_PKS0_S3_T0_S4_S4_.num_vgpr, 22
	.set _Z12cross_kernelIdiEviPT_PKS0_S3_T0_S4_S4_.num_agpr, 0
	.set _Z12cross_kernelIdiEviPT_PKS0_S3_T0_S4_S4_.numbered_sgpr, 22
	.set _Z12cross_kernelIdiEviPT_PKS0_S3_T0_S4_S4_.num_named_barrier, 0
	.set _Z12cross_kernelIdiEviPT_PKS0_S3_T0_S4_S4_.private_seg_size, 0
	.set _Z12cross_kernelIdiEviPT_PKS0_S3_T0_S4_S4_.uses_vcc, 1
	.set _Z12cross_kernelIdiEviPT_PKS0_S3_T0_S4_S4_.uses_flat_scratch, 0
	.set _Z12cross_kernelIdiEviPT_PKS0_S3_T0_S4_S4_.has_dyn_sized_stack, 0
	.set _Z12cross_kernelIdiEviPT_PKS0_S3_T0_S4_S4_.has_recursion, 0
	.set _Z12cross_kernelIdiEviPT_PKS0_S3_T0_S4_S4_.has_indirect_call, 0
	.section	.AMDGPU.csdata,"",@progbits
; Kernel info:
; codeLenInByte = 580
; TotalNumSgprs: 24
; NumVgprs: 22
; ScratchSize: 0
; MemoryBound: 0
; FloatMode: 240
; IeeeMode: 1
; LDSByteSize: 0 bytes/workgroup (compile time only)
; SGPRBlocks: 0
; VGPRBlocks: 2
; NumSGPRsForWavesPerEU: 24
; NumVGPRsForWavesPerEU: 22
; Occupancy: 16
; WaveLimiterHint : 0
; COMPUTE_PGM_RSRC2:SCRATCH_EN: 0
; COMPUTE_PGM_RSRC2:USER_SGPR: 2
; COMPUTE_PGM_RSRC2:TRAP_HANDLER: 0
; COMPUTE_PGM_RSRC2:TGID_X_EN: 1
; COMPUTE_PGM_RSRC2:TGID_Y_EN: 0
; COMPUTE_PGM_RSRC2:TGID_Z_EN: 0
; COMPUTE_PGM_RSRC2:TIDIG_COMP_CNT: 0
	.section	.text._Z13cross2_kernelIdiEviPT_PKS0_S3_T0_S4_S4_,"axG",@progbits,_Z13cross2_kernelIdiEviPT_PKS0_S3_T0_S4_S4_,comdat
	.protected	_Z13cross2_kernelIdiEviPT_PKS0_S3_T0_S4_S4_ ; -- Begin function _Z13cross2_kernelIdiEviPT_PKS0_S3_T0_S4_S4_
	.globl	_Z13cross2_kernelIdiEviPT_PKS0_S3_T0_S4_S4_
	.p2align	8
	.type	_Z13cross2_kernelIdiEviPT_PKS0_S3_T0_S4_S4_,@function
_Z13cross2_kernelIdiEviPT_PKS0_S3_T0_S4_S4_: ; @_Z13cross2_kernelIdiEviPT_PKS0_S3_T0_S4_S4_
; %bb.0:
	s_clause 0x1
	s_load_b32 s2, s[0:1], 0x3c
	s_load_b32 s14, s[0:1], 0x0
	s_wait_kmcnt 0x0
	s_and_b32 s8, s2, 0xffff
	s_mov_b32 s2, exec_lo
	v_mad_co_u64_u32 v[0:1], null, ttmp9, s8, v[0:1]
	s_delay_alu instid0(VALU_DEP_1)
	v_cmpx_gt_i32_e64 s14, v0
	s_cbranch_execz .LBB4_3
; %bb.1:
	s_load_b96 s[16:18], s[0:1], 0x20
	s_add_nc_u64 s[2:3], s[0:1], 48
	s_load_b32 s9, s[2:3], 0x0
	s_clause 0x1
	s_load_b128 s[4:7], s[0:1], 0x8
	s_load_b64 s[2:3], s[0:1], 0x18
	v_lshl_add_u32 v1, v0, 1, v0
	s_wait_kmcnt 0x0
	s_ashr_i32 s11, s17, 31
	s_mov_b32 s10, s17
	s_ashr_i32 s13, s18, 31
	s_mov_b32 s12, s18
	s_ashr_i32 s17, s16, 31
	s_mul_i32 s1, s9, s8
	s_lshl_b64 s[8:9], s[10:11], 3
	s_lshl_b64 s[10:11], s[12:13], 3
	;; [unrolled: 1-line block ×3, first 2 shown]
	s_wait_alu 0xfffe
	s_mul_i32 s15, s1, 3
	s_mov_b32 s16, 0
.LBB4_2:                                ; =>This Inner Loop Header: Depth=1
	v_ashrrev_i32_e32 v2, 31, v1
	v_add_nc_u32_e32 v0, s1, v0
	s_delay_alu instid0(VALU_DEP_2) | instskip(SKIP_2) | instid1(VALU_DEP_2)
	v_lshlrev_b64_e32 v[2:3], 3, v[1:2]
	s_wait_alu 0xfffe
	v_add_nc_u32_e32 v1, s15, v1
	v_add_co_u32 v4, vcc_lo, s6, v2
	s_wait_alu 0xfffd
	s_delay_alu instid0(VALU_DEP_3)
	v_add_co_ci_u32_e64 v5, null, s7, v3, vcc_lo
	v_add_co_u32 v6, vcc_lo, s2, v2
	s_wait_alu 0xfffd
	v_add_co_ci_u32_e64 v7, null, s3, v3, vcc_lo
	v_add_co_u32 v8, vcc_lo, v4, s8
	s_wait_alu 0xfffd
	;; [unrolled: 3-line block ×5, first 2 shown]
	v_add_co_ci_u32_e64 v15, null, s11, v11, vcc_lo
	s_clause 0x2
	global_load_b64 v[4:5], v[4:5], off
	global_load_b64 v[8:9], v[8:9], off
	;; [unrolled: 1-line block ×3, first 2 shown]
	s_clause 0x2
	global_load_b64 v[10:11], v[10:11], off
	global_load_b64 v[14:15], v[14:15], off
	;; [unrolled: 1-line block ×3, first 2 shown]
	v_add_co_u32 v2, vcc_lo, s4, v2
	s_wait_alu 0xfffd
	v_add_co_ci_u32_e64 v3, null, s5, v3, vcc_lo
	s_wait_loadcnt 0x2
	v_mul_f64_e32 v[16:17], v[12:13], v[10:11]
	s_wait_loadcnt 0x1
	v_mul_f64_e32 v[18:19], v[4:5], v[14:15]
	;; [unrolled: 2-line block ×3, first 2 shown]
	s_delay_alu instid0(VALU_DEP_3) | instskip(NEXT) | instid1(VALU_DEP_3)
	v_fma_f64 v[8:9], v[8:9], v[14:15], -v[16:17]
	v_fma_f64 v[6:7], v[12:13], v[6:7], -v[18:19]
	s_delay_alu instid0(VALU_DEP_3) | instskip(SKIP_4) | instid1(VALU_DEP_3)
	v_fma_f64 v[4:5], v[4:5], v[10:11], -v[20:21]
	v_add_co_u32 v10, vcc_lo, v2, s12
	s_wait_alu 0xfffd
	v_add_co_ci_u32_e64 v11, null, s13, v3, vcc_lo
	v_cmp_le_i32_e32 vcc_lo, s14, v0
	v_add_co_u32 v12, s0, v10, s12
	s_wait_alu 0xf1ff
	s_delay_alu instid0(VALU_DEP_3)
	v_add_co_ci_u32_e64 v13, null, s13, v11, s0
	s_or_b32 s16, vcc_lo, s16
	s_clause 0x2
	global_store_b64 v[2:3], v[8:9], off
	global_store_b64 v[10:11], v[6:7], off
	;; [unrolled: 1-line block ×3, first 2 shown]
	s_and_not1_b32 exec_lo, exec_lo, s16
	s_cbranch_execnz .LBB4_2
.LBB4_3:
	s_endpgm
	.section	.rodata,"a",@progbits
	.p2align	6, 0x0
	.amdhsa_kernel _Z13cross2_kernelIdiEviPT_PKS0_S3_T0_S4_S4_
		.amdhsa_group_segment_fixed_size 0
		.amdhsa_private_segment_fixed_size 0
		.amdhsa_kernarg_size 304
		.amdhsa_user_sgpr_count 2
		.amdhsa_user_sgpr_dispatch_ptr 0
		.amdhsa_user_sgpr_queue_ptr 0
		.amdhsa_user_sgpr_kernarg_segment_ptr 1
		.amdhsa_user_sgpr_dispatch_id 0
		.amdhsa_user_sgpr_private_segment_size 0
		.amdhsa_wavefront_size32 1
		.amdhsa_uses_dynamic_stack 0
		.amdhsa_enable_private_segment 0
		.amdhsa_system_sgpr_workgroup_id_x 1
		.amdhsa_system_sgpr_workgroup_id_y 0
		.amdhsa_system_sgpr_workgroup_id_z 0
		.amdhsa_system_sgpr_workgroup_info 0
		.amdhsa_system_vgpr_workitem_id 0
		.amdhsa_next_free_vgpr 22
		.amdhsa_next_free_sgpr 19
		.amdhsa_reserve_vcc 1
		.amdhsa_float_round_mode_32 0
		.amdhsa_float_round_mode_16_64 0
		.amdhsa_float_denorm_mode_32 3
		.amdhsa_float_denorm_mode_16_64 3
		.amdhsa_fp16_overflow 0
		.amdhsa_workgroup_processor_mode 1
		.amdhsa_memory_ordered 1
		.amdhsa_forward_progress 1
		.amdhsa_inst_pref_size 5
		.amdhsa_round_robin_scheduling 0
		.amdhsa_exception_fp_ieee_invalid_op 0
		.amdhsa_exception_fp_denorm_src 0
		.amdhsa_exception_fp_ieee_div_zero 0
		.amdhsa_exception_fp_ieee_overflow 0
		.amdhsa_exception_fp_ieee_underflow 0
		.amdhsa_exception_fp_ieee_inexact 0
		.amdhsa_exception_int_div_zero 0
	.end_amdhsa_kernel
	.section	.text._Z13cross2_kernelIdiEviPT_PKS0_S3_T0_S4_S4_,"axG",@progbits,_Z13cross2_kernelIdiEviPT_PKS0_S3_T0_S4_S4_,comdat
.Lfunc_end4:
	.size	_Z13cross2_kernelIdiEviPT_PKS0_S3_T0_S4_S4_, .Lfunc_end4-_Z13cross2_kernelIdiEviPT_PKS0_S3_T0_S4_S4_
                                        ; -- End function
	.set _Z13cross2_kernelIdiEviPT_PKS0_S3_T0_S4_S4_.num_vgpr, 22
	.set _Z13cross2_kernelIdiEviPT_PKS0_S3_T0_S4_S4_.num_agpr, 0
	.set _Z13cross2_kernelIdiEviPT_PKS0_S3_T0_S4_S4_.numbered_sgpr, 19
	.set _Z13cross2_kernelIdiEviPT_PKS0_S3_T0_S4_S4_.num_named_barrier, 0
	.set _Z13cross2_kernelIdiEviPT_PKS0_S3_T0_S4_S4_.private_seg_size, 0
	.set _Z13cross2_kernelIdiEviPT_PKS0_S3_T0_S4_S4_.uses_vcc, 1
	.set _Z13cross2_kernelIdiEviPT_PKS0_S3_T0_S4_S4_.uses_flat_scratch, 0
	.set _Z13cross2_kernelIdiEviPT_PKS0_S3_T0_S4_S4_.has_dyn_sized_stack, 0
	.set _Z13cross2_kernelIdiEviPT_PKS0_S3_T0_S4_S4_.has_recursion, 0
	.set _Z13cross2_kernelIdiEviPT_PKS0_S3_T0_S4_S4_.has_indirect_call, 0
	.section	.AMDGPU.csdata,"",@progbits
; Kernel info:
; codeLenInByte = 568
; TotalNumSgprs: 21
; NumVgprs: 22
; ScratchSize: 0
; MemoryBound: 0
; FloatMode: 240
; IeeeMode: 1
; LDSByteSize: 0 bytes/workgroup (compile time only)
; SGPRBlocks: 0
; VGPRBlocks: 2
; NumSGPRsForWavesPerEU: 21
; NumVGPRsForWavesPerEU: 22
; Occupancy: 16
; WaveLimiterHint : 0
; COMPUTE_PGM_RSRC2:SCRATCH_EN: 0
; COMPUTE_PGM_RSRC2:USER_SGPR: 2
; COMPUTE_PGM_RSRC2:TRAP_HANDLER: 0
; COMPUTE_PGM_RSRC2:TGID_X_EN: 1
; COMPUTE_PGM_RSRC2:TGID_Y_EN: 0
; COMPUTE_PGM_RSRC2:TGID_Z_EN: 0
; COMPUTE_PGM_RSRC2:TIDIG_COMP_CNT: 0
	.section	.text._Z13cross3_kernelIdEviPT_PKS0_S3_,"axG",@progbits,_Z13cross3_kernelIdEviPT_PKS0_S3_,comdat
	.protected	_Z13cross3_kernelIdEviPT_PKS0_S3_ ; -- Begin function _Z13cross3_kernelIdEviPT_PKS0_S3_
	.globl	_Z13cross3_kernelIdEviPT_PKS0_S3_
	.p2align	8
	.type	_Z13cross3_kernelIdEviPT_PKS0_S3_,@function
_Z13cross3_kernelIdEviPT_PKS0_S3_:      ; @_Z13cross3_kernelIdEviPT_PKS0_S3_
; %bb.0:
	s_clause 0x1
	s_load_b32 s2, s[0:1], 0x2c
	s_load_b32 s8, s[0:1], 0x0
	s_wait_kmcnt 0x0
	s_and_b32 s9, s2, 0xffff
	s_mov_b32 s2, exec_lo
	v_mad_co_u64_u32 v[0:1], null, ttmp9, s9, v[0:1]
	s_delay_alu instid0(VALU_DEP_1)
	v_cmpx_gt_i32_e64 s8, v0
	s_cbranch_execz .LBB5_3
; %bb.1:
	s_add_nc_u64 s[2:3], s[0:1], 32
	v_lshl_add_u32 v1, v0, 1, v0
	s_load_b32 s10, s[2:3], 0x0
	s_clause 0x1
	s_load_b128 s[4:7], s[0:1], 0x8
	s_load_b64 s[2:3], s[0:1], 0x18
	s_wait_kmcnt 0x0
	s_mul_i32 s1, s10, s9
	s_mov_b32 s10, 0
	s_wait_alu 0xfffe
	s_mul_i32 s9, s1, 3
.LBB5_2:                                ; =>This Inner Loop Header: Depth=1
	v_ashrrev_i32_e32 v2, 31, v1
	v_add_nc_u32_e32 v0, s1, v0
	s_delay_alu instid0(VALU_DEP_2) | instskip(SKIP_2) | instid1(VALU_DEP_2)
	v_lshlrev_b64_e32 v[12:13], 3, v[1:2]
	s_wait_alu 0xfffe
	v_add_nc_u32_e32 v1, s9, v1
	v_add_co_u32 v2, vcc_lo, s2, v12
	s_wait_alu 0xfffd
	s_delay_alu instid0(VALU_DEP_3)
	v_add_co_ci_u32_e64 v3, null, s3, v13, vcc_lo
	v_add_co_u32 v6, vcc_lo, s6, v12
	s_wait_alu 0xfffd
	v_add_co_ci_u32_e64 v7, null, s7, v13, vcc_lo
	s_clause 0x1
	global_load_b64 v[10:11], v[2:3], off offset:16
	global_load_b128 v[2:5], v[2:3], off
	s_clause 0x1
	global_load_b64 v[14:15], v[6:7], off offset:16
	global_load_b128 v[6:9], v[6:7], off
	v_cmp_le_i32_e32 vcc_lo, s8, v0
	s_or_b32 s10, vcc_lo, s10
	s_wait_loadcnt 0x1
	v_mul_f64_e32 v[16:17], v[14:15], v[4:5]
	s_wait_loadcnt 0x0
	v_mul_f64_e32 v[18:19], v[6:7], v[10:11]
	v_mul_f64_e32 v[20:21], v[8:9], v[2:3]
	s_delay_alu instid0(VALU_DEP_3) | instskip(NEXT) | instid1(VALU_DEP_3)
	v_fma_f64 v[8:9], v[8:9], v[10:11], -v[16:17]
	v_fma_f64 v[10:11], v[14:15], v[2:3], -v[18:19]
	s_delay_alu instid0(VALU_DEP_3)
	v_fma_f64 v[2:3], v[6:7], v[4:5], -v[20:21]
	v_add_co_u32 v4, s0, s4, v12
	s_wait_alu 0xf1ff
	v_add_co_ci_u32_e64 v5, null, s5, v13, s0
	s_clause 0x1
	global_store_b128 v[4:5], v[8:11], off
	global_store_b64 v[4:5], v[2:3], off offset:16
	s_and_not1_b32 exec_lo, exec_lo, s10
	s_cbranch_execnz .LBB5_2
.LBB5_3:
	s_endpgm
	.section	.rodata,"a",@progbits
	.p2align	6, 0x0
	.amdhsa_kernel _Z13cross3_kernelIdEviPT_PKS0_S3_
		.amdhsa_group_segment_fixed_size 0
		.amdhsa_private_segment_fixed_size 0
		.amdhsa_kernarg_size 288
		.amdhsa_user_sgpr_count 2
		.amdhsa_user_sgpr_dispatch_ptr 0
		.amdhsa_user_sgpr_queue_ptr 0
		.amdhsa_user_sgpr_kernarg_segment_ptr 1
		.amdhsa_user_sgpr_dispatch_id 0
		.amdhsa_user_sgpr_private_segment_size 0
		.amdhsa_wavefront_size32 1
		.amdhsa_uses_dynamic_stack 0
		.amdhsa_enable_private_segment 0
		.amdhsa_system_sgpr_workgroup_id_x 1
		.amdhsa_system_sgpr_workgroup_id_y 0
		.amdhsa_system_sgpr_workgroup_id_z 0
		.amdhsa_system_sgpr_workgroup_info 0
		.amdhsa_system_vgpr_workitem_id 0
		.amdhsa_next_free_vgpr 22
		.amdhsa_next_free_sgpr 11
		.amdhsa_reserve_vcc 1
		.amdhsa_float_round_mode_32 0
		.amdhsa_float_round_mode_16_64 0
		.amdhsa_float_denorm_mode_32 3
		.amdhsa_float_denorm_mode_16_64 3
		.amdhsa_fp16_overflow 0
		.amdhsa_workgroup_processor_mode 1
		.amdhsa_memory_ordered 1
		.amdhsa_forward_progress 1
		.amdhsa_inst_pref_size 3
		.amdhsa_round_robin_scheduling 0
		.amdhsa_exception_fp_ieee_invalid_op 0
		.amdhsa_exception_fp_denorm_src 0
		.amdhsa_exception_fp_ieee_div_zero 0
		.amdhsa_exception_fp_ieee_overflow 0
		.amdhsa_exception_fp_ieee_underflow 0
		.amdhsa_exception_fp_ieee_inexact 0
		.amdhsa_exception_int_div_zero 0
	.end_amdhsa_kernel
	.section	.text._Z13cross3_kernelIdEviPT_PKS0_S3_,"axG",@progbits,_Z13cross3_kernelIdEviPT_PKS0_S3_,comdat
.Lfunc_end5:
	.size	_Z13cross3_kernelIdEviPT_PKS0_S3_, .Lfunc_end5-_Z13cross3_kernelIdEviPT_PKS0_S3_
                                        ; -- End function
	.set _Z13cross3_kernelIdEviPT_PKS0_S3_.num_vgpr, 22
	.set _Z13cross3_kernelIdEviPT_PKS0_S3_.num_agpr, 0
	.set _Z13cross3_kernelIdEviPT_PKS0_S3_.numbered_sgpr, 11
	.set _Z13cross3_kernelIdEviPT_PKS0_S3_.num_named_barrier, 0
	.set _Z13cross3_kernelIdEviPT_PKS0_S3_.private_seg_size, 0
	.set _Z13cross3_kernelIdEviPT_PKS0_S3_.uses_vcc, 1
	.set _Z13cross3_kernelIdEviPT_PKS0_S3_.uses_flat_scratch, 0
	.set _Z13cross3_kernelIdEviPT_PKS0_S3_.has_dyn_sized_stack, 0
	.set _Z13cross3_kernelIdEviPT_PKS0_S3_.has_recursion, 0
	.set _Z13cross3_kernelIdEviPT_PKS0_S3_.has_indirect_call, 0
	.section	.AMDGPU.csdata,"",@progbits
; Kernel info:
; codeLenInByte = 364
; TotalNumSgprs: 13
; NumVgprs: 22
; ScratchSize: 0
; MemoryBound: 0
; FloatMode: 240
; IeeeMode: 1
; LDSByteSize: 0 bytes/workgroup (compile time only)
; SGPRBlocks: 0
; VGPRBlocks: 2
; NumSGPRsForWavesPerEU: 13
; NumVGPRsForWavesPerEU: 22
; Occupancy: 16
; WaveLimiterHint : 0
; COMPUTE_PGM_RSRC2:SCRATCH_EN: 0
; COMPUTE_PGM_RSRC2:USER_SGPR: 2
; COMPUTE_PGM_RSRC2:TRAP_HANDLER: 0
; COMPUTE_PGM_RSRC2:TGID_X_EN: 1
; COMPUTE_PGM_RSRC2:TGID_Y_EN: 0
; COMPUTE_PGM_RSRC2:TGID_Z_EN: 0
; COMPUTE_PGM_RSRC2:TIDIG_COMP_CNT: 0
	.section	.AMDGPU.gpr_maximums,"",@progbits
	.set amdgpu.max_num_vgpr, 0
	.set amdgpu.max_num_agpr, 0
	.set amdgpu.max_num_sgpr, 0
	.section	.AMDGPU.csdata,"",@progbits
	.type	__hip_cuid_efade07dc4cbb4a5,@object ; @__hip_cuid_efade07dc4cbb4a5
	.section	.bss,"aw",@nobits
	.globl	__hip_cuid_efade07dc4cbb4a5
__hip_cuid_efade07dc4cbb4a5:
	.byte	0                               ; 0x0
	.size	__hip_cuid_efade07dc4cbb4a5, 1

	.ident	"AMD clang version 22.0.0git (https://github.com/RadeonOpenCompute/llvm-project roc-7.2.4 26084 f58b06dce1f9c15707c5f808fd002e18c2accf7e)"
	.section	".note.GNU-stack","",@progbits
	.addrsig
	.addrsig_sym __hip_cuid_efade07dc4cbb4a5
	.amdgpu_metadata
---
amdhsa.kernels:
  - .args:
      - .offset:         0
        .size:           4
        .value_kind:     by_value
      - .address_space:  global
        .offset:         8
        .size:           8
        .value_kind:     global_buffer
      - .address_space:  global
        .offset:         16
        .size:           8
        .value_kind:     global_buffer
      - .address_space:  global
        .offset:         24
        .size:           8
        .value_kind:     global_buffer
      - .offset:         32
        .size:           4
        .value_kind:     by_value
      - .offset:         36
        .size:           4
        .value_kind:     by_value
      - .offset:         40
        .size:           4
        .value_kind:     by_value
      - .offset:         48
        .size:           4
        .value_kind:     hidden_block_count_x
      - .offset:         52
        .size:           4
        .value_kind:     hidden_block_count_y
      - .offset:         56
        .size:           4
        .value_kind:     hidden_block_count_z
      - .offset:         60
        .size:           2
        .value_kind:     hidden_group_size_x
      - .offset:         62
        .size:           2
        .value_kind:     hidden_group_size_y
      - .offset:         64
        .size:           2
        .value_kind:     hidden_group_size_z
      - .offset:         66
        .size:           2
        .value_kind:     hidden_remainder_x
      - .offset:         68
        .size:           2
        .value_kind:     hidden_remainder_y
      - .offset:         70
        .size:           2
        .value_kind:     hidden_remainder_z
      - .offset:         88
        .size:           8
        .value_kind:     hidden_global_offset_x
      - .offset:         96
        .size:           8
        .value_kind:     hidden_global_offset_y
      - .offset:         104
        .size:           8
        .value_kind:     hidden_global_offset_z
      - .offset:         112
        .size:           2
        .value_kind:     hidden_grid_dims
    .group_segment_fixed_size: 0
    .kernarg_segment_align: 8
    .kernarg_segment_size: 304
    .language:       OpenCL C
    .language_version:
      - 2
      - 0
    .max_flat_workgroup_size: 1024
    .name:           _Z12cross_kernelIfiEviPT_PKS0_S3_T0_S4_S4_
    .private_segment_fixed_size: 0
    .sgpr_count:     24
    .sgpr_spill_count: 0
    .symbol:         _Z12cross_kernelIfiEviPT_PKS0_S3_T0_S4_S4_.kd
    .uniform_work_group_size: 1
    .uses_dynamic_stack: false
    .vgpr_count:     17
    .vgpr_spill_count: 0
    .wavefront_size: 32
    .workgroup_processor_mode: 1
  - .args:
      - .offset:         0
        .size:           4
        .value_kind:     by_value
      - .address_space:  global
        .offset:         8
        .size:           8
        .value_kind:     global_buffer
      - .address_space:  global
        .offset:         16
        .size:           8
        .value_kind:     global_buffer
      - .address_space:  global
        .offset:         24
        .size:           8
        .value_kind:     global_buffer
      - .offset:         32
        .size:           4
        .value_kind:     by_value
      - .offset:         36
        .size:           4
        .value_kind:     by_value
      - .offset:         40
        .size:           4
        .value_kind:     by_value
      - .offset:         48
        .size:           4
        .value_kind:     hidden_block_count_x
      - .offset:         52
        .size:           4
        .value_kind:     hidden_block_count_y
      - .offset:         56
        .size:           4
        .value_kind:     hidden_block_count_z
      - .offset:         60
        .size:           2
        .value_kind:     hidden_group_size_x
      - .offset:         62
        .size:           2
        .value_kind:     hidden_group_size_y
      - .offset:         64
        .size:           2
        .value_kind:     hidden_group_size_z
      - .offset:         66
        .size:           2
        .value_kind:     hidden_remainder_x
      - .offset:         68
        .size:           2
        .value_kind:     hidden_remainder_y
      - .offset:         70
        .size:           2
        .value_kind:     hidden_remainder_z
      - .offset:         88
        .size:           8
        .value_kind:     hidden_global_offset_x
      - .offset:         96
        .size:           8
        .value_kind:     hidden_global_offset_y
      - .offset:         104
        .size:           8
        .value_kind:     hidden_global_offset_z
      - .offset:         112
        .size:           2
        .value_kind:     hidden_grid_dims
    .group_segment_fixed_size: 0
    .kernarg_segment_align: 8
    .kernarg_segment_size: 304
    .language:       OpenCL C
    .language_version:
      - 2
      - 0
    .max_flat_workgroup_size: 1024
    .name:           _Z13cross2_kernelIfiEviPT_PKS0_S3_T0_S4_S4_
    .private_segment_fixed_size: 0
    .sgpr_count:     21
    .sgpr_spill_count: 0
    .symbol:         _Z13cross2_kernelIfiEviPT_PKS0_S3_T0_S4_S4_.kd
    .uniform_work_group_size: 1
    .uses_dynamic_stack: false
    .vgpr_count:     17
    .vgpr_spill_count: 0
    .wavefront_size: 32
    .workgroup_processor_mode: 1
  - .args:
      - .offset:         0
        .size:           4
        .value_kind:     by_value
      - .address_space:  global
        .offset:         8
        .size:           8
        .value_kind:     global_buffer
      - .address_space:  global
        .offset:         16
        .size:           8
        .value_kind:     global_buffer
      - .address_space:  global
        .offset:         24
        .size:           8
        .value_kind:     global_buffer
      - .offset:         32
        .size:           4
        .value_kind:     hidden_block_count_x
      - .offset:         36
        .size:           4
        .value_kind:     hidden_block_count_y
      - .offset:         40
        .size:           4
        .value_kind:     hidden_block_count_z
      - .offset:         44
        .size:           2
        .value_kind:     hidden_group_size_x
      - .offset:         46
        .size:           2
        .value_kind:     hidden_group_size_y
      - .offset:         48
        .size:           2
        .value_kind:     hidden_group_size_z
      - .offset:         50
        .size:           2
        .value_kind:     hidden_remainder_x
      - .offset:         52
        .size:           2
        .value_kind:     hidden_remainder_y
      - .offset:         54
        .size:           2
        .value_kind:     hidden_remainder_z
      - .offset:         72
        .size:           8
        .value_kind:     hidden_global_offset_x
      - .offset:         80
        .size:           8
        .value_kind:     hidden_global_offset_y
      - .offset:         88
        .size:           8
        .value_kind:     hidden_global_offset_z
      - .offset:         96
        .size:           2
        .value_kind:     hidden_grid_dims
    .group_segment_fixed_size: 0
    .kernarg_segment_align: 8
    .kernarg_segment_size: 288
    .language:       OpenCL C
    .language_version:
      - 2
      - 0
    .max_flat_workgroup_size: 1024
    .name:           _Z13cross3_kernelIfEviPT_PKS0_S3_
    .private_segment_fixed_size: 0
    .sgpr_count:     13
    .sgpr_spill_count: 0
    .symbol:         _Z13cross3_kernelIfEviPT_PKS0_S3_.kd
    .uniform_work_group_size: 1
    .uses_dynamic_stack: false
    .vgpr_count:     13
    .vgpr_spill_count: 0
    .wavefront_size: 32
    .workgroup_processor_mode: 1
  - .args:
      - .offset:         0
        .size:           4
        .value_kind:     by_value
      - .address_space:  global
        .offset:         8
        .size:           8
        .value_kind:     global_buffer
      - .address_space:  global
        .offset:         16
        .size:           8
        .value_kind:     global_buffer
      - .address_space:  global
        .offset:         24
        .size:           8
        .value_kind:     global_buffer
      - .offset:         32
        .size:           4
        .value_kind:     by_value
      - .offset:         36
        .size:           4
        .value_kind:     by_value
      - .offset:         40
        .size:           4
        .value_kind:     by_value
      - .offset:         48
        .size:           4
        .value_kind:     hidden_block_count_x
      - .offset:         52
        .size:           4
        .value_kind:     hidden_block_count_y
      - .offset:         56
        .size:           4
        .value_kind:     hidden_block_count_z
      - .offset:         60
        .size:           2
        .value_kind:     hidden_group_size_x
      - .offset:         62
        .size:           2
        .value_kind:     hidden_group_size_y
      - .offset:         64
        .size:           2
        .value_kind:     hidden_group_size_z
      - .offset:         66
        .size:           2
        .value_kind:     hidden_remainder_x
      - .offset:         68
        .size:           2
        .value_kind:     hidden_remainder_y
      - .offset:         70
        .size:           2
        .value_kind:     hidden_remainder_z
      - .offset:         88
        .size:           8
        .value_kind:     hidden_global_offset_x
      - .offset:         96
        .size:           8
        .value_kind:     hidden_global_offset_y
      - .offset:         104
        .size:           8
        .value_kind:     hidden_global_offset_z
      - .offset:         112
        .size:           2
        .value_kind:     hidden_grid_dims
    .group_segment_fixed_size: 0
    .kernarg_segment_align: 8
    .kernarg_segment_size: 304
    .language:       OpenCL C
    .language_version:
      - 2
      - 0
    .max_flat_workgroup_size: 1024
    .name:           _Z12cross_kernelIdiEviPT_PKS0_S3_T0_S4_S4_
    .private_segment_fixed_size: 0
    .sgpr_count:     24
    .sgpr_spill_count: 0
    .symbol:         _Z12cross_kernelIdiEviPT_PKS0_S3_T0_S4_S4_.kd
    .uniform_work_group_size: 1
    .uses_dynamic_stack: false
    .vgpr_count:     22
    .vgpr_spill_count: 0
    .wavefront_size: 32
    .workgroup_processor_mode: 1
  - .args:
      - .offset:         0
        .size:           4
        .value_kind:     by_value
      - .address_space:  global
        .offset:         8
        .size:           8
        .value_kind:     global_buffer
      - .address_space:  global
        .offset:         16
        .size:           8
        .value_kind:     global_buffer
      - .address_space:  global
        .offset:         24
        .size:           8
        .value_kind:     global_buffer
      - .offset:         32
        .size:           4
        .value_kind:     by_value
      - .offset:         36
        .size:           4
        .value_kind:     by_value
      - .offset:         40
        .size:           4
        .value_kind:     by_value
      - .offset:         48
        .size:           4
        .value_kind:     hidden_block_count_x
      - .offset:         52
        .size:           4
        .value_kind:     hidden_block_count_y
      - .offset:         56
        .size:           4
        .value_kind:     hidden_block_count_z
      - .offset:         60
        .size:           2
        .value_kind:     hidden_group_size_x
      - .offset:         62
        .size:           2
        .value_kind:     hidden_group_size_y
      - .offset:         64
        .size:           2
        .value_kind:     hidden_group_size_z
      - .offset:         66
        .size:           2
        .value_kind:     hidden_remainder_x
      - .offset:         68
        .size:           2
        .value_kind:     hidden_remainder_y
      - .offset:         70
        .size:           2
        .value_kind:     hidden_remainder_z
      - .offset:         88
        .size:           8
        .value_kind:     hidden_global_offset_x
      - .offset:         96
        .size:           8
        .value_kind:     hidden_global_offset_y
      - .offset:         104
        .size:           8
        .value_kind:     hidden_global_offset_z
      - .offset:         112
        .size:           2
        .value_kind:     hidden_grid_dims
    .group_segment_fixed_size: 0
    .kernarg_segment_align: 8
    .kernarg_segment_size: 304
    .language:       OpenCL C
    .language_version:
      - 2
      - 0
    .max_flat_workgroup_size: 1024
    .name:           _Z13cross2_kernelIdiEviPT_PKS0_S3_T0_S4_S4_
    .private_segment_fixed_size: 0
    .sgpr_count:     21
    .sgpr_spill_count: 0
    .symbol:         _Z13cross2_kernelIdiEviPT_PKS0_S3_T0_S4_S4_.kd
    .uniform_work_group_size: 1
    .uses_dynamic_stack: false
    .vgpr_count:     22
    .vgpr_spill_count: 0
    .wavefront_size: 32
    .workgroup_processor_mode: 1
  - .args:
      - .offset:         0
        .size:           4
        .value_kind:     by_value
      - .address_space:  global
        .offset:         8
        .size:           8
        .value_kind:     global_buffer
      - .address_space:  global
        .offset:         16
        .size:           8
        .value_kind:     global_buffer
      - .address_space:  global
        .offset:         24
        .size:           8
        .value_kind:     global_buffer
      - .offset:         32
        .size:           4
        .value_kind:     hidden_block_count_x
      - .offset:         36
        .size:           4
        .value_kind:     hidden_block_count_y
      - .offset:         40
        .size:           4
        .value_kind:     hidden_block_count_z
      - .offset:         44
        .size:           2
        .value_kind:     hidden_group_size_x
      - .offset:         46
        .size:           2
        .value_kind:     hidden_group_size_y
      - .offset:         48
        .size:           2
        .value_kind:     hidden_group_size_z
      - .offset:         50
        .size:           2
        .value_kind:     hidden_remainder_x
      - .offset:         52
        .size:           2
        .value_kind:     hidden_remainder_y
      - .offset:         54
        .size:           2
        .value_kind:     hidden_remainder_z
      - .offset:         72
        .size:           8
        .value_kind:     hidden_global_offset_x
      - .offset:         80
        .size:           8
        .value_kind:     hidden_global_offset_y
      - .offset:         88
        .size:           8
        .value_kind:     hidden_global_offset_z
      - .offset:         96
        .size:           2
        .value_kind:     hidden_grid_dims
    .group_segment_fixed_size: 0
    .kernarg_segment_align: 8
    .kernarg_segment_size: 288
    .language:       OpenCL C
    .language_version:
      - 2
      - 0
    .max_flat_workgroup_size: 1024
    .name:           _Z13cross3_kernelIdEviPT_PKS0_S3_
    .private_segment_fixed_size: 0
    .sgpr_count:     13
    .sgpr_spill_count: 0
    .symbol:         _Z13cross3_kernelIdEviPT_PKS0_S3_.kd
    .uniform_work_group_size: 1
    .uses_dynamic_stack: false
    .vgpr_count:     22
    .vgpr_spill_count: 0
    .wavefront_size: 32
    .workgroup_processor_mode: 1
amdhsa.target:   amdgcn-amd-amdhsa--gfx1201
amdhsa.version:
  - 1
  - 2
...

	.end_amdgpu_metadata
